;; amdgpu-corpus repo=ROCm/rocFFT kind=compiled arch=gfx950 opt=O3
	.text
	.amdgcn_target "amdgcn-amd-amdhsa--gfx950"
	.amdhsa_code_object_version 6
	.protected	fft_rtc_fwd_len112_factors_4_7_4_wgs_448_tpt_28_dp_op_CI_CI_sbcc_twdbase6_3step_dirReg_intrinsicRead ; -- Begin function fft_rtc_fwd_len112_factors_4_7_4_wgs_448_tpt_28_dp_op_CI_CI_sbcc_twdbase6_3step_dirReg_intrinsicRead
	.globl	fft_rtc_fwd_len112_factors_4_7_4_wgs_448_tpt_28_dp_op_CI_CI_sbcc_twdbase6_3step_dirReg_intrinsicRead
	.p2align	8
	.type	fft_rtc_fwd_len112_factors_4_7_4_wgs_448_tpt_28_dp_op_CI_CI_sbcc_twdbase6_3step_dirReg_intrinsicRead,@function
fft_rtc_fwd_len112_factors_4_7_4_wgs_448_tpt_28_dp_op_CI_CI_sbcc_twdbase6_3step_dirReg_intrinsicRead: ; @fft_rtc_fwd_len112_factors_4_7_4_wgs_448_tpt_28_dp_op_CI_CI_sbcc_twdbase6_3step_dirReg_intrinsicRead
; %bb.0:
	s_load_dwordx8 s[4:11], s[0:1], 0x8
	s_load_dwordx2 s[26:27], s[0:1], 0x28
	s_movk_i32 s3, 0xc0
	v_cmp_gt_u32_e32 vcc, s3, v0
	s_and_saveexec_b64 s[12:13], vcc
	s_cbranch_execz .LBB0_2
; %bb.1:
	v_lshlrev_b32_e32 v1, 4, v0
	s_waitcnt lgkmcnt(0)
	global_load_dwordx4 v[2:5], v1, s[4:5]
	v_add_u32_e32 v1, 0, v1
	v_add_u32_e32 v1, 0x7000, v1
	s_waitcnt vmcnt(0)
	ds_write2_b64 v1, v[2:3], v[4:5] offset1:1
.LBB0_2:
	s_or_b64 exec, exec, s[12:13]
	s_waitcnt lgkmcnt(0)
	s_load_dwordx2 s[28:29], s[8:9], 0x8
	s_mov_b32 s3, 0
	s_mov_b64 s[24:25], 0
	s_waitcnt lgkmcnt(0)
	s_add_u32 s4, s28, -1
	s_addc_u32 s5, s29, -1
	s_lshr_b64 s[4:5], s[4:5], 4
	s_add_u32 s30, s4, 1
	s_addc_u32 s31, s5, 0
	v_mov_b64_e32 v[2:3], s[30:31]
	v_cmp_lt_u64_e32 vcc, s[2:3], v[2:3]
	s_cbranch_vccnz .LBB0_4
; %bb.3:
	v_cvt_f32_u32_e32 v1, s30
	s_sub_i32 s4, 0, s30
	s_mov_b32 s25, s3
	v_rcp_iflag_f32_e32 v1, v1
	s_nop 0
	v_mul_f32_e32 v1, 0x4f7ffffe, v1
	v_cvt_u32_f32_e32 v1, v1
	s_nop 0
	v_readfirstlane_b32 s5, v1
	s_mul_i32 s4, s4, s5
	s_mul_hi_u32 s4, s5, s4
	s_add_i32 s5, s5, s4
	s_mul_hi_u32 s4, s2, s5
	s_mul_i32 s12, s4, s30
	s_sub_i32 s12, s2, s12
	s_add_i32 s5, s4, 1
	s_sub_i32 s13, s12, s30
	s_cmp_ge_u32 s12, s30
	s_cselect_b32 s4, s5, s4
	s_cselect_b32 s12, s13, s12
	s_add_i32 s5, s4, 1
	s_cmp_ge_u32 s12, s30
	s_cselect_b32 s24, s5, s4
.LBB0_4:
	s_load_dwordx4 s[16:19], s[0:1], 0x60
	s_load_dwordx2 s[4:5], s[0:1], 0x0
	s_load_dwordx4 s[20:23], s[10:11], 0x0
	s_load_dwordx4 s[12:15], s[26:27], 0x0
	s_mul_i32 s0, s24, s31
	s_mul_hi_u32 s1, s24, s30
	s_add_i32 s1, s1, s0
	s_mul_i32 s0, s24, s30
	s_sub_u32 s0, s2, s0
	s_subb_u32 s1, 0, s1
	v_mov_b32_e32 v1, s0
	s_lshl_b64 s[34:35], s[0:1], 4
	v_alignbit_b32 v1, s1, v1, 28
	s_waitcnt lgkmcnt(0)
	v_mul_lo_u32 v2, s22, v1
	s_mul_hi_u32 s0, s22, s34
	v_add_u32_e32 v2, s0, v2
	s_mul_i32 s0, s23, s34
	v_add_u32_e32 v3, s0, v2
	s_mul_i32 s0, s22, s34
	v_mov_b32_e32 v2, s0
	v_mul_lo_u32 v1, s14, v1
	s_mul_hi_u32 s0, s14, s34
	v_add_u32_e32 v1, s0, v1
	s_mul_i32 s0, s15, s34
	v_add_u32_e32 v31, s0, v1
	s_mul_i32 s0, s14, s34
	v_mov_b32_e32 v30, s0
	v_cmp_lt_u64_e64 s[0:1], s[6:7], 3
	s_and_b64 vcc, exec, s[0:1]
	s_cbranch_vccnz .LBB0_13
; %bb.5:
	s_add_u32 s36, s26, 16
	s_addc_u32 s37, s27, 0
	s_add_u32 s38, s10, 16
	s_addc_u32 s39, s11, 0
	;; [unrolled: 2-line block ×3, first 2 shown]
	s_mov_b64 s[40:41], 2
	s_mov_b32 s42, 0
	v_mov_b64_e32 v[4:5], s[6:7]
	s_branch .LBB0_7
.LBB0_6:                                ;   in Loop: Header=BB0_7 Depth=1
	s_mul_i32 s21, s44, s31
	s_mul_hi_u32 s23, s44, s30
	s_add_i32 s21, s23, s21
	s_mul_i32 s23, s45, s30
	s_add_i32 s31, s21, s23
	s_mul_i32 s21, s0, s45
	s_mul_hi_u32 s23, s0, s44
	s_load_dwordx2 s[46:47], s[38:39], 0x0
	s_add_i32 s21, s23, s21
	s_mul_i32 s23, s1, s44
	s_add_i32 s21, s21, s23
	s_mul_i32 s23, s0, s44
	s_sub_u32 s23, s24, s23
	s_subb_u32 s21, s25, s21
	s_waitcnt lgkmcnt(0)
	s_mul_i32 s24, s46, s21
	s_mul_hi_u32 s25, s46, s23
	s_add_i32 s33, s25, s24
	s_load_dwordx2 s[24:25], s[36:37], 0x0
	s_mul_i32 s43, s47, s23
	s_add_i32 s45, s33, s43
	s_mul_i32 s30, s44, s30
	s_mul_i32 s44, s46, s23
	s_waitcnt lgkmcnt(0)
	s_mul_i32 s21, s24, s21
	s_mul_hi_u32 s33, s24, s23
	s_add_i32 s21, s33, s21
	s_mul_i32 s25, s25, s23
	s_add_i32 s25, s21, s25
	s_add_u32 s40, s40, 1
	s_addc_u32 s41, s41, 0
	s_add_u32 s36, s36, 8
	s_addc_u32 s37, s37, 0
	;; [unrolled: 2-line block ×3, first 2 shown]
	s_mul_i32 s24, s24, s23
	s_add_u32 s8, s8, 8
	v_cmp_ge_u64_e32 vcc, s[40:41], v[4:5]
	v_lshl_add_u64 v[2:3], s[44:45], 0, v[2:3]
	v_lshl_add_u64 v[30:31], s[24:25], 0, v[30:31]
	s_addc_u32 s9, s9, 0
	s_mov_b64 s[24:25], s[0:1]
	s_cbranch_vccnz .LBB0_11
.LBB0_7:                                ; =>This Inner Loop Header: Depth=1
	s_load_dwordx2 s[44:45], s[8:9], 0x0
	s_waitcnt lgkmcnt(0)
	s_or_b64 s[0:1], s[24:25], s[44:45]
	s_mov_b32 s43, s1
	s_cmp_lg_u64 s[42:43], 0
	s_cbranch_scc0 .LBB0_9
; %bb.8:                                ;   in Loop: Header=BB0_7 Depth=1
	v_cvt_f32_u32_e32 v1, s44
	v_cvt_f32_u32_e32 v6, s45
	s_sub_u32 s0, 0, s44
	s_subb_u32 s1, 0, s45
	v_fmac_f32_e32 v1, 0x4f800000, v6
	v_rcp_f32_e32 v1, v1
	s_nop 0
	v_mul_f32_e32 v1, 0x5f7ffffc, v1
	v_mul_f32_e32 v6, 0x2f800000, v1
	v_trunc_f32_e32 v6, v6
	v_fmac_f32_e32 v1, 0xcf800000, v6
	v_cvt_u32_f32_e32 v6, v6
	v_cvt_u32_f32_e32 v1, v1
	v_readfirstlane_b32 s21, v6
	v_readfirstlane_b32 s23, v1
	s_mul_i32 s33, s0, s21
	s_mul_hi_u32 s46, s0, s23
	s_mul_i32 s43, s1, s23
	s_add_i32 s33, s46, s33
	s_mul_i32 s47, s0, s23
	s_add_i32 s33, s33, s43
	s_mul_hi_u32 s43, s23, s33
	s_mul_i32 s46, s23, s33
	s_mul_hi_u32 s23, s23, s47
	s_add_u32 s23, s23, s46
	s_addc_u32 s43, 0, s43
	s_mul_hi_u32 s48, s21, s47
	s_mul_i32 s47, s21, s47
	s_add_u32 s23, s23, s47
	s_mul_hi_u32 s46, s21, s33
	s_addc_u32 s23, s43, s48
	s_addc_u32 s43, s46, 0
	s_mul_i32 s33, s21, s33
	s_add_u32 s23, s23, s33
	s_addc_u32 s33, 0, s43
	v_add_co_u32_e32 v1, vcc, s23, v1
	s_cmp_lg_u64 vcc, 0
	s_addc_u32 s21, s21, s33
	v_readfirstlane_b32 s33, v1
	s_mul_i32 s23, s0, s21
	s_mul_hi_u32 s43, s0, s33
	s_add_i32 s23, s43, s23
	s_mul_i32 s1, s1, s33
	s_add_i32 s23, s23, s1
	s_mul_i32 s0, s0, s33
	s_mul_hi_u32 s43, s21, s0
	s_mul_i32 s46, s21, s0
	s_mul_i32 s48, s33, s23
	s_mul_hi_u32 s0, s33, s0
	s_mul_hi_u32 s47, s33, s23
	s_add_u32 s0, s0, s48
	s_addc_u32 s33, 0, s47
	s_add_u32 s0, s0, s46
	s_mul_hi_u32 s1, s21, s23
	s_addc_u32 s0, s33, s43
	s_addc_u32 s1, s1, 0
	s_mul_i32 s23, s21, s23
	s_add_u32 s0, s0, s23
	s_addc_u32 s1, 0, s1
	v_add_co_u32_e32 v1, vcc, s0, v1
	s_cmp_lg_u64 vcc, 0
	s_addc_u32 s0, s21, s1
	v_readfirstlane_b32 s23, v1
	s_mul_i32 s21, s24, s0
	s_mul_hi_u32 s33, s24, s23
	s_mul_hi_u32 s1, s24, s0
	s_add_u32 s21, s33, s21
	s_addc_u32 s1, 0, s1
	s_mul_hi_u32 s43, s25, s23
	s_mul_i32 s23, s25, s23
	s_add_u32 s21, s21, s23
	s_mul_hi_u32 s33, s25, s0
	s_addc_u32 s1, s1, s43
	s_addc_u32 s21, s33, 0
	s_mul_i32 s0, s25, s0
	s_add_u32 s23, s1, s0
	s_addc_u32 s21, 0, s21
	s_mul_i32 s0, s44, s21
	s_mul_hi_u32 s1, s44, s23
	s_add_i32 s0, s1, s0
	s_mul_i32 s1, s45, s23
	s_add_i32 s33, s0, s1
	s_mul_i32 s1, s44, s23
	v_mov_b32_e32 v1, s1
	s_sub_i32 s0, s25, s33
	v_sub_co_u32_e32 v1, vcc, s24, v1
	s_cmp_lg_u64 vcc, 0
	s_subb_u32 s43, s0, s45
	v_subrev_co_u32_e64 v6, s[0:1], s44, v1
	s_cmp_lg_u64 s[0:1], 0
	s_subb_u32 s0, s43, 0
	s_cmp_ge_u32 s0, s45
	v_readfirstlane_b32 s43, v6
	s_cselect_b32 s1, -1, 0
	s_cmp_ge_u32 s43, s44
	s_cselect_b32 s43, -1, 0
	s_cmp_eq_u32 s0, s45
	s_cselect_b32 s0, s43, s1
	s_add_u32 s1, s23, 1
	s_addc_u32 s43, s21, 0
	s_add_u32 s46, s23, 2
	s_addc_u32 s47, s21, 0
	s_cmp_lg_u32 s0, 0
	s_cselect_b32 s0, s46, s1
	s_cselect_b32 s1, s47, s43
	s_cmp_lg_u64 vcc, 0
	s_subb_u32 s33, s25, s33
	s_cmp_ge_u32 s33, s45
	v_readfirstlane_b32 s46, v1
	s_cselect_b32 s43, -1, 0
	s_cmp_ge_u32 s46, s44
	s_cselect_b32 s46, -1, 0
	s_cmp_eq_u32 s33, s45
	s_cselect_b32 s33, s46, s43
	s_cmp_lg_u32 s33, 0
	s_cselect_b32 s1, s1, s21
	s_cselect_b32 s0, s0, s23
	s_cbranch_execnz .LBB0_6
	s_branch .LBB0_10
.LBB0_9:                                ;   in Loop: Header=BB0_7 Depth=1
                                        ; implicit-def: $sgpr0_sgpr1
.LBB0_10:                               ;   in Loop: Header=BB0_7 Depth=1
	v_cvt_f32_u32_e32 v1, s44
	s_sub_i32 s0, 0, s44
	v_rcp_iflag_f32_e32 v1, v1
	s_nop 0
	v_mul_f32_e32 v1, 0x4f7ffffe, v1
	v_cvt_u32_f32_e32 v1, v1
	s_nop 0
	v_readfirstlane_b32 s1, v1
	s_mul_i32 s0, s0, s1
	s_mul_hi_u32 s0, s1, s0
	s_add_i32 s1, s1, s0
	s_mul_hi_u32 s0, s24, s1
	s_mul_i32 s21, s0, s44
	s_sub_i32 s21, s24, s21
	s_add_i32 s1, s0, 1
	s_sub_i32 s23, s21, s44
	s_cmp_ge_u32 s21, s44
	s_cselect_b32 s0, s1, s0
	s_cselect_b32 s21, s23, s21
	s_add_i32 s1, s0, 1
	s_cmp_ge_u32 s21, s44
	s_cselect_b32 s0, s1, s0
	s_mov_b32 s1, s42
	s_branch .LBB0_6
.LBB0_11:
	v_mov_b64_e32 v[4:5], s[30:31]
	v_cmp_lt_u64_e32 vcc, s[2:3], v[4:5]
	s_mov_b64 s[24:25], 0
	s_cbranch_vccnz .LBB0_13
; %bb.12:
	v_cvt_f32_u32_e32 v1, s30
	s_sub_i32 s0, 0, s30
	v_rcp_iflag_f32_e32 v1, v1
	s_nop 0
	v_mul_f32_e32 v1, 0x4f7ffffe, v1
	v_cvt_u32_f32_e32 v1, v1
	s_nop 0
	v_readfirstlane_b32 s1, v1
	s_mul_i32 s0, s0, s1
	s_mul_hi_u32 s0, s1, s0
	s_add_i32 s1, s1, s0
	s_mul_hi_u32 s0, s2, s1
	s_mul_i32 s3, s0, s30
	s_sub_i32 s2, s2, s3
	s_add_i32 s1, s0, 1
	s_sub_i32 s3, s2, s30
	s_cmp_ge_u32 s2, s30
	s_cselect_b32 s0, s1, s0
	s_cselect_b32 s2, s3, s2
	s_add_i32 s1, s0, 1
	s_cmp_ge_u32 s2, s30
	s_cselect_b32 s24, s1, s0
.LBB0_13:
	s_lshl_b64 s[0:1], s[6:7], 3
	s_add_u32 s2, s10, s0
	s_addc_u32 s3, s11, s1
	s_load_dwordx2 s[2:3], s[2:3], 0x0
	v_and_b32_e32 v1, 15, v0
	v_mov_b64_e32 v[4:5], s[28:29]
	v_or_b32_e32 v32, s34, v1
	v_mov_b32_e32 v33, s35
	s_waitcnt lgkmcnt(0)
	s_mul_i32 s3, s3, s24
	s_mul_hi_u32 s6, s2, s24
	s_mul_i32 s2, s2, s24
	s_add_i32 s3, s6, s3
	v_lshl_add_u64 v[18:19], s[2:3], 0, v[2:3]
	s_add_u32 s2, s26, s0
	s_addc_u32 s3, s27, s1
	s_add_u32 s0, s34, 16
	s_addc_u32 s1, s35, 0
	v_cmp_le_u64_e32 vcc, s[0:1], v[4:5]
	v_mad_u64_u32 v[20:21], s[0:1], s22, v1, 0
	v_cmp_gt_u64_e64 s[0:1], s[28:29], v[32:33]
	v_mov_b64_e32 v[4:5], 0
	v_mov_b32_e32 v3, 0
	v_lshrrev_b32_e32 v34, 4, v0
	s_or_b64 s[0:1], vcc, s[0:1]
	v_mov_b64_e32 v[8:9], v[4:5]
	v_mov_b64_e32 v[6:7], v[4:5]
	s_and_saveexec_b64 s[6:7], s[0:1]
	s_cbranch_execz .LBB0_15
; %bb.14:
	v_mul_lo_u32 v2, s20, v34
	v_add3_u32 v2, v18, v20, v2
	v_lshl_add_u64 v[2:3], v[2:3], 4, s[16:17]
	global_load_dwordx4 v[6:9], v[2:3], off
.LBB0_15:
	s_or_b64 exec, exec, s[6:7]
	v_mov_b64_e32 v[2:3], v[4:5]
	s_and_saveexec_b64 s[6:7], s[0:1]
	s_cbranch_execz .LBB0_17
; %bb.16:
	v_add_u32_e32 v2, 28, v34
	v_mul_lo_u32 v2, s20, v2
	v_add3_u32 v2, v18, v20, v2
	v_mov_b32_e32 v3, 0
	v_lshl_add_u64 v[2:3], v[2:3], 4, s[16:17]
	global_load_dwordx4 v[2:5], v[2:3], off
.LBB0_17:
	s_or_b64 exec, exec, s[6:7]
	v_mov_b64_e32 v[12:13], 0
	v_mov_b64_e32 v[16:17], v[12:13]
	;; [unrolled: 1-line block ×3, first 2 shown]
	s_and_saveexec_b64 s[6:7], s[0:1]
	s_cbranch_execz .LBB0_19
; %bb.18:
	v_add_u32_e32 v10, 56, v34
	v_mul_lo_u32 v10, s20, v10
	v_add3_u32 v10, v18, v20, v10
	v_mov_b32_e32 v11, 0
	v_lshl_add_u64 v[10:11], v[10:11], 4, s[16:17]
	global_load_dwordx4 v[14:17], v[10:11], off
.LBB0_19:
	s_or_b64 exec, exec, s[6:7]
	v_mov_b64_e32 v[10:11], v[12:13]
	s_and_saveexec_b64 s[6:7], s[0:1]
	s_cbranch_execz .LBB0_21
; %bb.20:
	v_add_u32_e32 v10, 0x54, v34
	v_mul_lo_u32 v10, s20, v10
	v_add3_u32 v10, v18, v20, v10
	v_mov_b32_e32 v11, 0
	v_lshl_add_u64 v[10:11], v[10:11], 4, s[16:17]
	global_load_dwordx4 v[10:13], v[10:11], off
.LBB0_21:
	s_or_b64 exec, exec, s[6:7]
	s_waitcnt vmcnt(0)
	v_add_f64 v[18:19], v[6:7], -v[14:15]
	v_add_f64 v[10:11], v[2:3], -v[10:11]
	s_load_dwordx2 s[2:3], s[2:3], 0x0
	v_add_f64 v[20:21], v[8:9], -v[16:17]
	v_fma_f64 v[14:15], v[6:7], 2.0, -v[18:19]
	v_add_f64 v[12:13], v[4:5], -v[12:13]
	v_fma_f64 v[2:3], v[2:3], 2.0, -v[10:11]
	v_fma_f64 v[16:17], v[8:9], 2.0, -v[20:21]
	v_fma_f64 v[4:5], v[4:5], 2.0, -v[12:13]
	v_add_f64 v[6:7], v[14:15], -v[2:3]
	v_add_f64 v[8:9], v[16:17], -v[4:5]
	v_fma_f64 v[2:3], v[14:15], 2.0, -v[6:7]
	v_add_f64 v[14:15], v[18:19], -v[12:13]
	v_fma_f64 v[4:5], v[16:17], 2.0, -v[8:9]
	v_add_f64 v[16:17], v[20:21], v[10:11]
	v_fma_f64 v[10:11], v[18:19], 2.0, -v[14:15]
	v_lshlrev_b32_e32 v18, 10, v34
	v_lshlrev_b32_e32 v33, 4, v1
	s_movk_i32 s6, 0x100
	v_fma_f64 v[12:13], v[20:21], 2.0, -v[16:17]
	v_add3_u32 v18, 0, v18, v33
	v_cmp_gt_u32_e32 vcc, s6, v0
	ds_write_b128 v18, v[2:5]
	ds_write_b128 v18, v[10:13] offset:256
	ds_write_b128 v18, v[6:9] offset:512
	;; [unrolled: 1-line block ×3, first 2 shown]
	s_waitcnt lgkmcnt(0)
	s_barrier
	s_waitcnt lgkmcnt(0)
                                        ; implicit-def: $vgpr28_vgpr29
                                        ; implicit-def: $vgpr20_vgpr21
                                        ; implicit-def: $vgpr24_vgpr25
	s_and_saveexec_b64 s[6:7], vcc
	s_cbranch_execz .LBB0_23
; %bb.22:
	v_and_b32_e32 v2, 0xf0, v0
	v_lshlrev_b32_e32 v2, 4, v2
	v_add3_u32 v26, 0, v2, v33
	ds_read_b128 v[2:5], v26
	ds_read_b128 v[10:13], v26 offset:4096
	ds_read_b128 v[6:9], v26 offset:8192
	ds_read_b128 v[14:17], v26 offset:12288
	ds_read_b128 v[22:25], v26 offset:16384
	ds_read_b128 v[18:21], v26 offset:20480
	ds_read_b128 v[26:29], v26 offset:24576
.LBB0_23:
	s_or_b64 exec, exec, s[6:7]
	s_waitcnt lgkmcnt(0)
	s_barrier
	s_and_saveexec_b64 s[6:7], vcc
	s_cbranch_execz .LBB0_25
; %bb.24:
	v_bfe_u32 v35, v0, 4, 2
	v_mul_u32_u24_e32 v36, 6, v35
	v_lshlrev_b32_e32 v60, 4, v36
	global_load_dwordx4 v[36:39], v60, s[4:5] offset:48
	global_load_dwordx4 v[40:43], v60, s[4:5] offset:32
	;; [unrolled: 1-line block ×4, first 2 shown]
	global_load_dwordx4 v[52:55], v60, s[4:5]
	global_load_dwordx4 v[56:59], v60, s[4:5] offset:80
	s_mov_b32 s16, 0xe976ee23
	s_mov_b32 s26, 0x37e14327
	;; [unrolled: 1-line block ×12, first 2 shown]
	s_waitcnt vmcnt(5)
	v_mul_f64 v[60:61], v[24:25], v[38:39]
	v_mul_f64 v[38:39], v[22:23], v[38:39]
	s_waitcnt vmcnt(4)
	v_mul_f64 v[62:63], v[16:17], v[42:43]
	v_mul_f64 v[42:43], v[14:15], v[42:43]
	v_fma_f64 v[22:23], v[22:23], v[36:37], -v[60:61]
	v_fmac_f64_e32 v[38:39], v[24:25], v[36:37]
	s_waitcnt vmcnt(3)
	v_mul_f64 v[36:37], v[6:7], v[46:47]
	v_fma_f64 v[14:15], v[14:15], v[40:41], -v[62:63]
	v_fmac_f64_e32 v[42:43], v[16:17], v[40:41]
	v_mul_f64 v[16:17], v[8:9], v[46:47]
	s_waitcnt vmcnt(2)
	v_mul_f64 v[40:41], v[20:21], v[50:51]
	s_waitcnt vmcnt(1)
	;; [unrolled: 2-line block ×3, first 2 shown]
	v_mul_f64 v[24:25], v[28:29], v[58:59]
	v_mul_f64 v[46:47], v[18:19], v[50:51]
	;; [unrolled: 1-line block ×3, first 2 shown]
	v_fmac_f64_e32 v[36:37], v[8:9], v[44:45]
	v_mul_f64 v[8:9], v[26:27], v[58:59]
	v_fma_f64 v[6:7], v[6:7], v[44:45], -v[16:17]
	v_fma_f64 v[16:17], v[18:19], v[48:49], -v[40:41]
	;; [unrolled: 1-line block ×4, first 2 shown]
	v_fmac_f64_e32 v[46:47], v[20:21], v[48:49]
	v_fmac_f64_e32 v[50:51], v[12:13], v[52:53]
	;; [unrolled: 1-line block ×3, first 2 shown]
	v_add_f64 v[12:13], v[22:23], -v[14:15]
	v_add_f64 v[20:21], v[6:7], -v[16:17]
	;; [unrolled: 1-line block ×3, first 2 shown]
	v_add_f64 v[28:29], v[36:37], v[46:47]
	v_add_f64 v[40:41], v[50:51], v[8:9]
	;; [unrolled: 1-line block ×5, first 2 shown]
	v_add_f64 v[6:7], v[38:39], -v[42:43]
	v_add_f64 v[18:19], v[36:37], -v[46:47]
	v_add_f64 v[26:27], v[42:43], v[38:39]
	v_add_f64 v[22:23], v[50:51], -v[8:9]
	v_add_f64 v[36:37], v[12:13], -v[20:21]
	v_add_f64 v[44:45], v[28:29], v[40:41]
	;; [unrolled: 3-line block ×3, first 2 shown]
	v_add_f64 v[42:43], v[40:41], -v[26:27]
	v_add_f64 v[50:51], v[16:17], v[10:11]
	v_add_f64 v[52:53], v[6:7], v[18:19]
	v_add_f64 v[56:57], v[22:23], -v[6:7]
	v_mul_f64 v[36:37], v[36:37], s[16:17]
	v_add_f64 v[6:7], v[26:27], v[44:45]
	v_mul_f64 v[44:45], v[48:49], s[26:27]
	v_mul_f64 v[48:49], v[54:55], s[16:17]
	s_mov_b32 s16, 0x429ad128
	v_add_f64 v[12:13], v[24:25], -v[12:13]
	v_add_f64 v[38:39], v[26:27], -v[28:29]
	;; [unrolled: 1-line block ×3, first 2 shown]
	v_add_f64 v[58:59], v[8:9], v[24:25]
	v_mul_f64 v[42:43], v[42:43], s[26:27]
	v_add_f64 v[8:9], v[14:15], v[50:51]
	v_add_f64 v[20:21], v[20:21], -v[24:25]
	s_mov_b32 s17, 0x3febfeb5
	v_mul_f64 v[60:61], v[38:39], s[20:21]
	v_mul_f64 v[26:27], v[46:47], s[20:21]
	v_add_f64 v[14:15], v[52:53], v[22:23]
	v_fma_f64 v[50:51], s[10:11], v[12:13], v[36:37]
	v_fma_f64 v[38:39], s[20:21], v[38:39], v[42:43]
	;; [unrolled: 1-line block ×3, first 2 shown]
	v_add_f64 v[2:3], v[2:3], v[8:9]
	v_fma_f64 v[52:53], s[10:11], v[56:57], v[48:49]
	v_mul_f64 v[24:25], v[20:21], s[16:17]
	s_mov_b32 s11, 0xbfd5d0dc
	v_add_f64 v[28:29], v[28:29], -v[40:41]
	s_mov_b32 s21, 0xbfe77f67
	s_mov_b32 s20, 0x5476071b
	v_mov_b64_e32 v[62:63], v[2:3]
	v_fma_f64 v[24:25], v[12:13], s[10:11], -v[24:25]
	v_fma_f64 v[12:13], v[28:29], s[20:21], -v[42:43]
	v_add_f64 v[42:43], v[16:17], -v[10:11]
	v_fmac_f64_e32 v[62:63], s[22:23], v[8:9]
	v_fma_f64 v[10:11], v[42:43], s[20:21], -v[44:45]
	v_add_f64 v[18:19], v[18:19], -v[22:23]
	v_fma_f64 v[20:21], v[20:21], s[16:17], -v[36:37]
	v_lshrrev_b32_e32 v36, 6, v0
	v_add_f64 v[4:5], v[4:5], v[6:7]
	v_add_f64 v[44:45], v[10:11], v[62:63]
	v_mul_f64 v[10:11], v[18:19], s[16:17]
	v_mul_u32_u24_e32 v36, 28, v36
	v_mov_b64_e32 v[54:55], v[4:5]
	v_fma_f64 v[22:23], v[56:57], s[10:11], -v[10:11]
	s_mov_b32 s21, 0x3fe77f67
	v_fma_f64 v[18:19], v[18:19], s[16:17], -v[48:49]
	v_or_b32_e32 v35, v36, v35
	v_fmac_f64_e32 v[54:55], s[22:23], v[6:7]
	v_fmac_f64_e32 v[52:53], s[8:9], v[14:15]
	;; [unrolled: 1-line block ×3, first 2 shown]
	v_fma_f64 v[16:17], v[28:29], s[20:21], -v[60:61]
	v_fmac_f64_e32 v[18:19], s[8:9], v[14:15]
	v_fma_f64 v[14:15], v[42:43], s[20:21], -v[26:27]
	v_lshlrev_b32_e32 v35, 8, v35
	v_fmac_f64_e32 v[50:51], s[8:9], v[58:59]
	v_add_f64 v[38:39], v[38:39], v[54:55]
	v_add_f64 v[46:47], v[46:47], v[62:63]
	v_fmac_f64_e32 v[24:25], s[8:9], v[58:59]
	v_add_f64 v[40:41], v[12:13], v[54:55]
	v_add_f64 v[28:29], v[16:17], v[54:55]
	v_fmac_f64_e32 v[20:21], s[8:9], v[58:59]
	v_add_f64 v[26:27], v[14:15], v[62:63]
	v_add3_u32 v35, 0, v35, v33
	v_add_f64 v[8:9], v[50:51], v[38:39]
	v_add_f64 v[6:7], v[46:47], -v[52:53]
	v_add_f64 v[12:13], v[24:25], v[40:41]
	v_add_f64 v[10:11], v[44:45], -v[22:23]
	v_add_f64 v[16:17], v[28:29], -v[20:21]
	v_add_f64 v[14:15], v[18:19], v[26:27]
	v_add_f64 v[20:21], v[20:21], v[28:29]
	v_add_f64 v[18:19], v[26:27], -v[18:19]
	v_add_f64 v[24:25], v[40:41], -v[24:25]
	v_add_f64 v[22:23], v[22:23], v[44:45]
	v_add_f64 v[28:29], v[38:39], -v[50:51]
	v_add_f64 v[26:27], v[52:53], v[46:47]
	ds_write_b128 v35, v[2:5]
	ds_write_b128 v35, v[26:29] offset:1024
	ds_write_b128 v35, v[22:25] offset:2048
	;; [unrolled: 1-line block ×6, first 2 shown]
.LBB0_25:
	s_or_b64 exec, exec, s[6:7]
	s_waitcnt lgkmcnt(0)
	s_barrier
	s_and_saveexec_b64 s[6:7], s[0:1]
	s_cbranch_execz .LBB0_27
; %bb.26:
	s_mov_b32 s0, 0x12492493
	v_mul_hi_u32 v2, v34, s0
	v_lshrrev_b32_e32 v2, 1, v2
	v_mul_u32_u24_e32 v2, 28, v2
	v_sub_u32_e32 v60, v34, v2
	v_mul_u32_u24_e32 v2, 3, v60
	v_lshlrev_b32_e32 v14, 4, v2
	global_load_dwordx4 v[2:5], v14, s[4:5] offset:400
	global_load_dwordx4 v[6:9], v14, s[4:5] offset:384
	;; [unrolled: 1-line block ×3, first 2 shown]
	v_lshlrev_b32_e32 v14, 8, v34
	s_movk_i32 s4, 0xffe4
	v_add_u32_e32 v34, 0x54, v60
	v_add3_u32 v26, 0, v14, v33
	v_mul_lo_u32 v33, v32, s4
	v_mul_lo_u32 v34, v34, v32
	v_lshrrev_b32_e32 v35, 8, v34
	v_and_b32_e32 v36, 63, v34
	v_lshrrev_b32_e32 v37, 2, v34
	v_add_u32_e32 v61, v34, v33
	s_mul_i32 s1, s3, s24
	s_mul_hi_u32 s3, s2, s24
	s_mul_i32 s0, s2, s24
	s_add_i32 s2, 0, 0x7000
	v_and_b32_e32 v34, 0x3f0, v35
	v_lshl_add_u32 v38, v36, 4, 0
	v_and_b32_e32 v35, 0x3f0, v37
	v_lshrrev_b32_e32 v36, 8, v61
	v_lshrrev_b32_e32 v39, 2, v61
	v_and_b32_e32 v37, 63, v61
	v_add_u32_e32 v34, s2, v34
	v_add_u32_e32 v42, s2, v35
	v_and_b32_e32 v43, 0x3f0, v36
	v_and_b32_e32 v46, 0x3f0, v39
	ds_read_b128 v[14:17], v26
	ds_read_b128 v[18:21], v26 offset:7168
	ds_read_b128 v[22:25], v26 offset:14336
	;; [unrolled: 1-line block ×3, first 2 shown]
	v_lshl_add_u32 v50, v37, 4, 0
	ds_read_b128 v[34:37], v34 offset:2048
	ds_read_b128 v[38:41], v38 offset:28672
	v_add_u32_e32 v47, s2, v43
	ds_read_b128 v[42:45], v42 offset:1024
	v_add_u32_e32 v54, s2, v46
	ds_read_b128 v[46:49], v47 offset:2048
	ds_read_b128 v[50:53], v50 offset:28672
	;; [unrolled: 1-line block ×3, first 2 shown]
	s_add_i32 s1, s3, s1
	v_mul_hi_u32_u24_e32 v0, 0x924925, v0
	s_waitcnt lgkmcnt(3)
	v_mul_f64 v[58:59], v[40:41], v[44:45]
	v_mul_f64 v[44:45], v[38:39], v[44:45]
	v_fma_f64 v[38:39], v[38:39], v[42:43], -v[58:59]
	v_fmac_f64_e32 v[44:45], v[40:41], v[42:43]
	s_waitcnt lgkmcnt(0)
	v_mul_f64 v[40:41], v[52:53], v[56:57]
	v_mul_f64 v[42:43], v[50:51], v[56:57]
	;; [unrolled: 1-line block ×4, first 2 shown]
	v_fma_f64 v[40:41], v[50:51], v[54:55], -v[40:41]
	v_fmac_f64_e32 v[42:43], v[52:53], v[54:55]
	v_fma_f64 v[38:39], v[34:35], v[38:39], -v[56:57]
	v_fmac_f64_e32 v[36:37], v[34:35], v[44:45]
	v_mul_f64 v[34:35], v[42:43], v[48:49]
	v_mul_f64 v[44:45], v[40:41], v[48:49]
	v_fma_f64 v[34:35], v[46:47], v[40:41], -v[34:35]
	v_fmac_f64_e32 v[44:45], v[46:47], v[42:43]
	s_lshl_b64 s[0:1], s[0:1], 4
	s_add_u32 s0, s18, s0
	s_addc_u32 s1, s19, s1
	s_waitcnt vmcnt(2)
	v_mul_f64 v[40:41], v[22:23], v[4:5]
	s_waitcnt vmcnt(1)
	v_mul_f64 v[42:43], v[20:21], v[8:9]
	;; [unrolled: 2-line block ×3, first 2 shown]
	v_mul_f64 v[4:5], v[24:25], v[4:5]
	v_mul_f64 v[8:9], v[18:19], v[8:9]
	;; [unrolled: 1-line block ×3, first 2 shown]
	v_fmac_f64_e32 v[40:41], v[24:25], v[2:3]
	v_fma_f64 v[18:19], v[18:19], v[6:7], -v[42:43]
	v_fma_f64 v[24:25], v[26:27], v[10:11], -v[46:47]
	;; [unrolled: 1-line block ×3, first 2 shown]
	v_fmac_f64_e32 v[8:9], v[20:21], v[6:7]
	v_fmac_f64_e32 v[12:13], v[28:29], v[10:11]
	v_add_f64 v[10:11], v[16:17], -v[40:41]
	v_add_f64 v[4:5], v[18:19], -v[24:25]
	;; [unrolled: 1-line block ×4, first 2 shown]
	v_add_f64 v[12:13], v[10:11], v[4:5]
	v_add_f64 v[28:29], v[26:27], -v[2:3]
	v_fma_f64 v[40:41], v[16:17], 2.0, -v[10:11]
	v_fma_f64 v[2:3], v[8:9], 2.0, -v[2:3]
	;; [unrolled: 1-line block ×4, first 2 shown]
	v_mul_f64 v[4:5], v[28:29], v[36:37]
	v_mul_f64 v[8:9], v[12:13], v[36:37]
	v_add_f64 v[36:37], v[40:41], -v[2:3]
	v_add_f64 v[46:47], v[42:43], -v[6:7]
	v_fma_f64 v[2:3], v[28:29], v[38:39], -v[8:9]
	v_mul_f64 v[8:9], v[46:47], v[44:45]
	v_mul_f64 v[6:7], v[36:37], v[44:45]
	v_add_u32_e32 v18, v61, v33
	v_fmac_f64_e32 v[8:9], v[36:37], v[34:35]
	v_fma_f64 v[6:7], v[46:47], v[34:35], -v[6:7]
	v_fma_f64 v[34:35], v[10:11], 2.0, -v[12:13]
	v_lshrrev_b32_e32 v10, 8, v18
	v_and_b32_e32 v11, 63, v18
	v_lshrrev_b32_e32 v18, 2, v18
	v_and_b32_e32 v10, 0x3f0, v10
	v_and_b32_e32 v18, 0x3f0, v18
	v_add_u32_e32 v10, s2, v10
	v_lshl_add_u32 v14, v11, 4, 0
	v_add_u32_e32 v18, s2, v18
	v_fmac_f64_e32 v[4:5], v[12:13], v[38:39]
	ds_read_b128 v[10:13], v10 offset:2048
	ds_read_b128 v[14:17], v14 offset:28672
	;; [unrolled: 1-line block ×3, first 2 shown]
	v_mul_lo_u32 v44, v60, v32
	v_lshrrev_b32_e32 v22, 8, v44
	v_and_b32_e32 v22, 0x3f0, v22
	v_add_u32_e32 v22, s2, v22
	ds_read_b128 v[22:25], v22 offset:2048
	s_waitcnt lgkmcnt(1)
	v_mul_f64 v[32:33], v[16:17], v[20:21]
	v_fma_f64 v[32:33], v[14:15], v[18:19], -v[32:33]
	v_mul_f64 v[14:15], v[14:15], v[20:21]
	v_fmac_f64_e32 v[14:15], v[16:17], v[18:19]
	v_mul_f64 v[16:17], v[14:15], v[12:13]
	v_fma_f64 v[26:27], v[26:27], 2.0, -v[28:29]
	v_mul_f64 v[28:29], v[32:33], v[12:13]
	v_fma_f64 v[38:39], v[10:11], v[32:33], -v[16:17]
	v_fmac_f64_e32 v[28:29], v[10:11], v[14:15]
	v_and_b32_e32 v10, 63, v44
	v_lshrrev_b32_e32 v11, 2, v44
	v_lshl_add_u32 v10, v10, 4, 0
	v_and_b32_e32 v11, 0x3f0, v11
	v_add_u32_e32 v11, s2, v11
	ds_read_b128 v[14:17], v10 offset:28672
	ds_read_b128 v[18:21], v11 offset:1024
	v_mul_f64 v[12:13], v[26:27], v[28:29]
	v_mul_f64 v[10:11], v[34:35], v[28:29]
	v_fma_f64 v[10:11], v[26:27], v[38:39], -v[10:11]
	v_fma_f64 v[26:27], v[40:41], 2.0, -v[36:37]
	s_waitcnt lgkmcnt(0)
	v_mul_f64 v[28:29], v[16:17], v[20:21]
	v_fma_f64 v[28:29], v[14:15], v[18:19], -v[28:29]
	v_mul_f64 v[14:15], v[14:15], v[20:21]
	v_fmac_f64_e32 v[14:15], v[16:17], v[18:19]
	v_mul_f64 v[16:17], v[14:15], v[24:25]
	v_mul_f64 v[24:25], v[28:29], v[24:25]
	v_fma_f64 v[20:21], v[42:43], 2.0, -v[46:47]
	v_fmac_f64_e32 v[24:25], v[22:23], v[14:15]
	v_fma_f64 v[18:19], v[22:23], v[28:29], -v[16:17]
	v_mul_f64 v[16:17], v[20:21], v[24:25]
	v_mul_f64 v[14:15], v[26:27], v[24:25]
	v_fmac_f64_e32 v[16:17], v[26:27], v[18:19]
	v_fma_f64 v[14:15], v[20:21], v[18:19], -v[14:15]
	v_mad_u64_u32 v[18:19], s[2:3], s14, v1, 0
	v_mov_b32_e32 v20, v19
	v_mad_u64_u32 v[20:21], s[2:3], s15, v1, v[20:21]
	s_movk_i32 s2, 0x70
	s_nop 0
	v_mad_u32_u24 v22, v0, s2, v60
	v_mad_u64_u32 v[0:1], s[2:3], s12, v22, 0
	v_mov_b32_e32 v19, v20
	v_mov_b32_e32 v20, v1
	v_mad_u64_u32 v[20:21], s[2:3], s13, v22, v[20:21]
	v_mov_b32_e32 v1, v20
	v_lshlrev_b64 v[20:21], 4, v[30:31]
	v_lshl_add_u64 v[20:21], s[0:1], 0, v[20:21]
	v_lshl_add_u64 v[18:19], v[18:19], 4, v[20:21]
	;; [unrolled: 1-line block ×3, first 2 shown]
	global_store_dwordx4 v[0:1], v[14:17], off
	v_fmac_f64_e32 v[12:13], v[34:35], v[38:39]
	s_nop 0
	v_add_u32_e32 v15, 28, v22
	v_mad_u64_u32 v[0:1], s[0:1], s12, v15, 0
	v_mov_b32_e32 v14, v1
	v_mad_u64_u32 v[14:15], s[0:1], s13, v15, v[14:15]
	v_mov_b32_e32 v1, v14
	v_lshl_add_u64 v[0:1], v[0:1], 4, v[18:19]
	global_store_dwordx4 v[0:1], v[10:13], off
	s_nop 1
	v_add_u32_e32 v11, 56, v22
	v_mad_u64_u32 v[0:1], s[0:1], s12, v11, 0
	v_mov_b32_e32 v10, v1
	v_mad_u64_u32 v[10:11], s[0:1], s13, v11, v[10:11]
	v_mov_b32_e32 v1, v10
	v_lshl_add_u64 v[0:1], v[0:1], 4, v[18:19]
	global_store_dwordx4 v[0:1], v[6:9], off
	s_nop 1
	v_add_u32_e32 v7, 0x54, v22
	v_mad_u64_u32 v[0:1], s[0:1], s12, v7, 0
	v_mov_b32_e32 v6, v1
	v_mad_u64_u32 v[6:7], s[0:1], s13, v7, v[6:7]
	v_mov_b32_e32 v1, v6
	v_lshl_add_u64 v[0:1], v[0:1], 4, v[18:19]
	global_store_dwordx4 v[0:1], v[2:5], off
.LBB0_27:
	s_endpgm
	.section	.rodata,"a",@progbits
	.p2align	6, 0x0
	.amdhsa_kernel fft_rtc_fwd_len112_factors_4_7_4_wgs_448_tpt_28_dp_op_CI_CI_sbcc_twdbase6_3step_dirReg_intrinsicRead
		.amdhsa_group_segment_fixed_size 0
		.amdhsa_private_segment_fixed_size 0
		.amdhsa_kernarg_size 112
		.amdhsa_user_sgpr_count 2
		.amdhsa_user_sgpr_dispatch_ptr 0
		.amdhsa_user_sgpr_queue_ptr 0
		.amdhsa_user_sgpr_kernarg_segment_ptr 1
		.amdhsa_user_sgpr_dispatch_id 0
		.amdhsa_user_sgpr_kernarg_preload_length 0
		.amdhsa_user_sgpr_kernarg_preload_offset 0
		.amdhsa_user_sgpr_private_segment_size 0
		.amdhsa_uses_dynamic_stack 0
		.amdhsa_enable_private_segment 0
		.amdhsa_system_sgpr_workgroup_id_x 1
		.amdhsa_system_sgpr_workgroup_id_y 0
		.amdhsa_system_sgpr_workgroup_id_z 0
		.amdhsa_system_sgpr_workgroup_info 0
		.amdhsa_system_vgpr_workitem_id 0
		.amdhsa_next_free_vgpr 64
		.amdhsa_next_free_sgpr 49
		.amdhsa_accum_offset 64
		.amdhsa_reserve_vcc 1
		.amdhsa_float_round_mode_32 0
		.amdhsa_float_round_mode_16_64 0
		.amdhsa_float_denorm_mode_32 3
		.amdhsa_float_denorm_mode_16_64 3
		.amdhsa_dx10_clamp 1
		.amdhsa_ieee_mode 1
		.amdhsa_fp16_overflow 0
		.amdhsa_tg_split 0
		.amdhsa_exception_fp_ieee_invalid_op 0
		.amdhsa_exception_fp_denorm_src 0
		.amdhsa_exception_fp_ieee_div_zero 0
		.amdhsa_exception_fp_ieee_overflow 0
		.amdhsa_exception_fp_ieee_underflow 0
		.amdhsa_exception_fp_ieee_inexact 0
		.amdhsa_exception_int_div_zero 0
	.end_amdhsa_kernel
	.text
.Lfunc_end0:
	.size	fft_rtc_fwd_len112_factors_4_7_4_wgs_448_tpt_28_dp_op_CI_CI_sbcc_twdbase6_3step_dirReg_intrinsicRead, .Lfunc_end0-fft_rtc_fwd_len112_factors_4_7_4_wgs_448_tpt_28_dp_op_CI_CI_sbcc_twdbase6_3step_dirReg_intrinsicRead
                                        ; -- End function
	.section	.AMDGPU.csdata,"",@progbits
; Kernel info:
; codeLenInByte = 4416
; NumSgprs: 55
; NumVgprs: 64
; NumAgprs: 0
; TotalNumVgprs: 64
; ScratchSize: 0
; MemoryBound: 0
; FloatMode: 240
; IeeeMode: 1
; LDSByteSize: 0 bytes/workgroup (compile time only)
; SGPRBlocks: 6
; VGPRBlocks: 7
; NumSGPRsForWavesPerEU: 55
; NumVGPRsForWavesPerEU: 64
; AccumOffset: 64
; Occupancy: 7
; WaveLimiterHint : 1
; COMPUTE_PGM_RSRC2:SCRATCH_EN: 0
; COMPUTE_PGM_RSRC2:USER_SGPR: 2
; COMPUTE_PGM_RSRC2:TRAP_HANDLER: 0
; COMPUTE_PGM_RSRC2:TGID_X_EN: 1
; COMPUTE_PGM_RSRC2:TGID_Y_EN: 0
; COMPUTE_PGM_RSRC2:TGID_Z_EN: 0
; COMPUTE_PGM_RSRC2:TIDIG_COMP_CNT: 0
; COMPUTE_PGM_RSRC3_GFX90A:ACCUM_OFFSET: 15
; COMPUTE_PGM_RSRC3_GFX90A:TG_SPLIT: 0
	.text
	.p2alignl 6, 3212836864
	.fill 256, 4, 3212836864
	.type	__hip_cuid_d08dc10bc9bb7113,@object ; @__hip_cuid_d08dc10bc9bb7113
	.section	.bss,"aw",@nobits
	.globl	__hip_cuid_d08dc10bc9bb7113
__hip_cuid_d08dc10bc9bb7113:
	.byte	0                               ; 0x0
	.size	__hip_cuid_d08dc10bc9bb7113, 1

	.ident	"AMD clang version 19.0.0git (https://github.com/RadeonOpenCompute/llvm-project roc-6.4.0 25133 c7fe45cf4b819c5991fe208aaa96edf142730f1d)"
	.section	".note.GNU-stack","",@progbits
	.addrsig
	.addrsig_sym __hip_cuid_d08dc10bc9bb7113
	.amdgpu_metadata
---
amdhsa.kernels:
  - .agpr_count:     0
    .args:
      - .actual_access:  read_only
        .address_space:  global
        .offset:         0
        .size:           8
        .value_kind:     global_buffer
      - .address_space:  global
        .offset:         8
        .size:           8
        .value_kind:     global_buffer
      - .offset:         16
        .size:           8
        .value_kind:     by_value
      - .actual_access:  read_only
        .address_space:  global
        .offset:         24
        .size:           8
        .value_kind:     global_buffer
      - .actual_access:  read_only
        .address_space:  global
        .offset:         32
        .size:           8
        .value_kind:     global_buffer
      - .actual_access:  read_only
        .address_space:  global
        .offset:         40
        .size:           8
        .value_kind:     global_buffer
      - .offset:         48
        .size:           8
        .value_kind:     by_value
      - .actual_access:  read_only
        .address_space:  global
        .offset:         56
        .size:           8
        .value_kind:     global_buffer
      - .actual_access:  read_only
        .address_space:  global
        .offset:         64
        .size:           8
        .value_kind:     global_buffer
      - .offset:         72
        .size:           4
        .value_kind:     by_value
      - .actual_access:  read_only
        .address_space:  global
        .offset:         80
        .size:           8
        .value_kind:     global_buffer
      - .actual_access:  read_only
        .address_space:  global
        .offset:         88
        .size:           8
        .value_kind:     global_buffer
      - .actual_access:  read_only
        .address_space:  global
        .offset:         96
        .size:           8
        .value_kind:     global_buffer
      - .actual_access:  write_only
        .address_space:  global
        .offset:         104
        .size:           8
        .value_kind:     global_buffer
    .group_segment_fixed_size: 0
    .kernarg_segment_align: 8
    .kernarg_segment_size: 112
    .language:       OpenCL C
    .language_version:
      - 2
      - 0
    .max_flat_workgroup_size: 448
    .name:           fft_rtc_fwd_len112_factors_4_7_4_wgs_448_tpt_28_dp_op_CI_CI_sbcc_twdbase6_3step_dirReg_intrinsicRead
    .private_segment_fixed_size: 0
    .sgpr_count:     55
    .sgpr_spill_count: 0
    .symbol:         fft_rtc_fwd_len112_factors_4_7_4_wgs_448_tpt_28_dp_op_CI_CI_sbcc_twdbase6_3step_dirReg_intrinsicRead.kd
    .uniform_work_group_size: 1
    .uses_dynamic_stack: false
    .vgpr_count:     64
    .vgpr_spill_count: 0
    .wavefront_size: 64
amdhsa.target:   amdgcn-amd-amdhsa--gfx950
amdhsa.version:
  - 1
  - 2
...

	.end_amdgpu_metadata
